;; amdgpu-corpus repo=ROCm/rocFFT kind=compiled arch=gfx1030 opt=O3
	.text
	.amdgcn_target "amdgcn-amd-amdhsa--gfx1030"
	.amdhsa_code_object_version 6
	.protected	fft_rtc_back_len1000_factors_10_10_10_wgs_100_tpt_100_halfLds_dp_op_CI_CI_unitstride_sbrr_C2R_dirReg ; -- Begin function fft_rtc_back_len1000_factors_10_10_10_wgs_100_tpt_100_halfLds_dp_op_CI_CI_unitstride_sbrr_C2R_dirReg
	.globl	fft_rtc_back_len1000_factors_10_10_10_wgs_100_tpt_100_halfLds_dp_op_CI_CI_unitstride_sbrr_C2R_dirReg
	.p2align	8
	.type	fft_rtc_back_len1000_factors_10_10_10_wgs_100_tpt_100_halfLds_dp_op_CI_CI_unitstride_sbrr_C2R_dirReg,@function
fft_rtc_back_len1000_factors_10_10_10_wgs_100_tpt_100_halfLds_dp_op_CI_CI_unitstride_sbrr_C2R_dirReg: ; @fft_rtc_back_len1000_factors_10_10_10_wgs_100_tpt_100_halfLds_dp_op_CI_CI_unitstride_sbrr_C2R_dirReg
; %bb.0:
	s_clause 0x2
	s_load_dwordx4 s[12:15], s[4:5], 0x0
	s_load_dwordx4 s[8:11], s[4:5], 0x58
	;; [unrolled: 1-line block ×3, first 2 shown]
	v_mul_u32_u24_e32 v1, 0x290, v0
	v_mov_b32_e32 v3, 0
	v_add_nc_u32_sdwa v5, s6, v1 dst_sel:DWORD dst_unused:UNUSED_PAD src0_sel:DWORD src1_sel:WORD_1
	v_mov_b32_e32 v1, 0
	v_mov_b32_e32 v6, v3
	v_mov_b32_e32 v2, 0
	s_waitcnt lgkmcnt(0)
	v_cmp_lt_u64_e64 s0, s[14:15], 2
	s_and_b32 vcc_lo, exec_lo, s0
	s_cbranch_vccnz .LBB0_8
; %bb.1:
	s_load_dwordx2 s[0:1], s[4:5], 0x10
	v_mov_b32_e32 v1, 0
	v_mov_b32_e32 v2, 0
	s_add_u32 s2, s18, 8
	s_addc_u32 s3, s19, 0
	s_add_u32 s6, s16, 8
	s_addc_u32 s7, s17, 0
	v_mov_b32_e32 v17, v2
	v_mov_b32_e32 v16, v1
	s_mov_b64 s[22:23], 1
	s_waitcnt lgkmcnt(0)
	s_add_u32 s20, s0, 8
	s_addc_u32 s21, s1, 0
.LBB0_2:                                ; =>This Inner Loop Header: Depth=1
	s_load_dwordx2 s[24:25], s[20:21], 0x0
                                        ; implicit-def: $vgpr18_vgpr19
	s_mov_b32 s0, exec_lo
	s_waitcnt lgkmcnt(0)
	v_or_b32_e32 v4, s25, v6
	v_cmpx_ne_u64_e32 0, v[3:4]
	s_xor_b32 s1, exec_lo, s0
	s_cbranch_execz .LBB0_4
; %bb.3:                                ;   in Loop: Header=BB0_2 Depth=1
	v_cvt_f32_u32_e32 v4, s24
	v_cvt_f32_u32_e32 v7, s25
	s_sub_u32 s0, 0, s24
	s_subb_u32 s26, 0, s25
	v_fmac_f32_e32 v4, 0x4f800000, v7
	v_rcp_f32_e32 v4, v4
	v_mul_f32_e32 v4, 0x5f7ffffc, v4
	v_mul_f32_e32 v7, 0x2f800000, v4
	v_trunc_f32_e32 v7, v7
	v_fmac_f32_e32 v4, 0xcf800000, v7
	v_cvt_u32_f32_e32 v7, v7
	v_cvt_u32_f32_e32 v4, v4
	v_mul_lo_u32 v8, s0, v7
	v_mul_hi_u32 v9, s0, v4
	v_mul_lo_u32 v10, s26, v4
	v_add_nc_u32_e32 v8, v9, v8
	v_mul_lo_u32 v9, s0, v4
	v_add_nc_u32_e32 v8, v8, v10
	v_mul_hi_u32 v10, v4, v9
	v_mul_lo_u32 v11, v4, v8
	v_mul_hi_u32 v12, v4, v8
	v_mul_hi_u32 v13, v7, v9
	v_mul_lo_u32 v9, v7, v9
	v_mul_hi_u32 v14, v7, v8
	v_mul_lo_u32 v8, v7, v8
	v_add_co_u32 v10, vcc_lo, v10, v11
	v_add_co_ci_u32_e32 v11, vcc_lo, 0, v12, vcc_lo
	v_add_co_u32 v9, vcc_lo, v10, v9
	v_add_co_ci_u32_e32 v9, vcc_lo, v11, v13, vcc_lo
	v_add_co_ci_u32_e32 v10, vcc_lo, 0, v14, vcc_lo
	v_add_co_u32 v8, vcc_lo, v9, v8
	v_add_co_ci_u32_e32 v9, vcc_lo, 0, v10, vcc_lo
	v_add_co_u32 v4, vcc_lo, v4, v8
	v_add_co_ci_u32_e32 v7, vcc_lo, v7, v9, vcc_lo
	v_mul_hi_u32 v8, s0, v4
	v_mul_lo_u32 v10, s26, v4
	v_mul_lo_u32 v9, s0, v7
	v_add_nc_u32_e32 v8, v8, v9
	v_mul_lo_u32 v9, s0, v4
	v_add_nc_u32_e32 v8, v8, v10
	v_mul_hi_u32 v10, v4, v9
	v_mul_lo_u32 v11, v4, v8
	v_mul_hi_u32 v12, v4, v8
	v_mul_hi_u32 v13, v7, v9
	v_mul_lo_u32 v9, v7, v9
	v_mul_hi_u32 v14, v7, v8
	v_mul_lo_u32 v8, v7, v8
	v_add_co_u32 v10, vcc_lo, v10, v11
	v_add_co_ci_u32_e32 v11, vcc_lo, 0, v12, vcc_lo
	v_add_co_u32 v9, vcc_lo, v10, v9
	v_add_co_ci_u32_e32 v9, vcc_lo, v11, v13, vcc_lo
	v_add_co_ci_u32_e32 v10, vcc_lo, 0, v14, vcc_lo
	v_add_co_u32 v8, vcc_lo, v9, v8
	v_add_co_ci_u32_e32 v9, vcc_lo, 0, v10, vcc_lo
	v_add_co_u32 v4, vcc_lo, v4, v8
	v_add_co_ci_u32_e32 v11, vcc_lo, v7, v9, vcc_lo
	v_mul_hi_u32 v13, v5, v4
	v_mad_u64_u32 v[9:10], null, v6, v4, 0
	v_mad_u64_u32 v[7:8], null, v5, v11, 0
	;; [unrolled: 1-line block ×3, first 2 shown]
	v_add_co_u32 v4, vcc_lo, v13, v7
	v_add_co_ci_u32_e32 v7, vcc_lo, 0, v8, vcc_lo
	v_add_co_u32 v4, vcc_lo, v4, v9
	v_add_co_ci_u32_e32 v4, vcc_lo, v7, v10, vcc_lo
	v_add_co_ci_u32_e32 v7, vcc_lo, 0, v12, vcc_lo
	v_add_co_u32 v4, vcc_lo, v4, v11
	v_add_co_ci_u32_e32 v9, vcc_lo, 0, v7, vcc_lo
	v_mul_lo_u32 v10, s25, v4
	v_mad_u64_u32 v[7:8], null, s24, v4, 0
	v_mul_lo_u32 v11, s24, v9
	v_sub_co_u32 v7, vcc_lo, v5, v7
	v_add3_u32 v8, v8, v11, v10
	v_sub_nc_u32_e32 v10, v6, v8
	v_subrev_co_ci_u32_e64 v10, s0, s25, v10, vcc_lo
	v_add_co_u32 v11, s0, v4, 2
	v_add_co_ci_u32_e64 v12, s0, 0, v9, s0
	v_sub_co_u32 v13, s0, v7, s24
	v_sub_co_ci_u32_e32 v8, vcc_lo, v6, v8, vcc_lo
	v_subrev_co_ci_u32_e64 v10, s0, 0, v10, s0
	v_cmp_le_u32_e32 vcc_lo, s24, v13
	v_cmp_eq_u32_e64 s0, s25, v8
	v_cndmask_b32_e64 v13, 0, -1, vcc_lo
	v_cmp_le_u32_e32 vcc_lo, s25, v10
	v_cndmask_b32_e64 v14, 0, -1, vcc_lo
	v_cmp_le_u32_e32 vcc_lo, s24, v7
	;; [unrolled: 2-line block ×3, first 2 shown]
	v_cndmask_b32_e64 v15, 0, -1, vcc_lo
	v_cmp_eq_u32_e32 vcc_lo, s25, v10
	v_cndmask_b32_e64 v7, v15, v7, s0
	v_cndmask_b32_e32 v10, v14, v13, vcc_lo
	v_add_co_u32 v13, vcc_lo, v4, 1
	v_add_co_ci_u32_e32 v14, vcc_lo, 0, v9, vcc_lo
	v_cmp_ne_u32_e32 vcc_lo, 0, v10
	v_cndmask_b32_e32 v8, v14, v12, vcc_lo
	v_cndmask_b32_e32 v10, v13, v11, vcc_lo
	v_cmp_ne_u32_e32 vcc_lo, 0, v7
	v_cndmask_b32_e32 v19, v9, v8, vcc_lo
	v_cndmask_b32_e32 v18, v4, v10, vcc_lo
.LBB0_4:                                ;   in Loop: Header=BB0_2 Depth=1
	s_andn2_saveexec_b32 s0, s1
	s_cbranch_execz .LBB0_6
; %bb.5:                                ;   in Loop: Header=BB0_2 Depth=1
	v_cvt_f32_u32_e32 v4, s24
	s_sub_i32 s1, 0, s24
	v_mov_b32_e32 v19, v3
	v_rcp_iflag_f32_e32 v4, v4
	v_mul_f32_e32 v4, 0x4f7ffffe, v4
	v_cvt_u32_f32_e32 v4, v4
	v_mul_lo_u32 v7, s1, v4
	v_mul_hi_u32 v7, v4, v7
	v_add_nc_u32_e32 v4, v4, v7
	v_mul_hi_u32 v4, v5, v4
	v_mul_lo_u32 v7, v4, s24
	v_add_nc_u32_e32 v8, 1, v4
	v_sub_nc_u32_e32 v7, v5, v7
	v_subrev_nc_u32_e32 v9, s24, v7
	v_cmp_le_u32_e32 vcc_lo, s24, v7
	v_cndmask_b32_e32 v7, v7, v9, vcc_lo
	v_cndmask_b32_e32 v4, v4, v8, vcc_lo
	v_cmp_le_u32_e32 vcc_lo, s24, v7
	v_add_nc_u32_e32 v8, 1, v4
	v_cndmask_b32_e32 v18, v4, v8, vcc_lo
.LBB0_6:                                ;   in Loop: Header=BB0_2 Depth=1
	s_or_b32 exec_lo, exec_lo, s0
	v_mul_lo_u32 v4, v19, s24
	v_mul_lo_u32 v9, v18, s25
	s_load_dwordx2 s[0:1], s[6:7], 0x0
	v_mad_u64_u32 v[7:8], null, v18, s24, 0
	s_load_dwordx2 s[24:25], s[2:3], 0x0
	s_add_u32 s22, s22, 1
	s_addc_u32 s23, s23, 0
	s_add_u32 s2, s2, 8
	s_addc_u32 s3, s3, 0
	s_add_u32 s6, s6, 8
	v_add3_u32 v4, v8, v9, v4
	v_sub_co_u32 v5, vcc_lo, v5, v7
	s_addc_u32 s7, s7, 0
	s_add_u32 s20, s20, 8
	v_sub_co_ci_u32_e32 v4, vcc_lo, v6, v4, vcc_lo
	s_addc_u32 s21, s21, 0
	s_waitcnt lgkmcnt(0)
	v_mul_lo_u32 v6, s0, v4
	v_mul_lo_u32 v7, s1, v5
	v_mad_u64_u32 v[1:2], null, s0, v5, v[1:2]
	v_mul_lo_u32 v4, s24, v4
	v_mul_lo_u32 v8, s25, v5
	v_mad_u64_u32 v[16:17], null, s24, v5, v[16:17]
	v_cmp_ge_u64_e64 s0, s[22:23], s[14:15]
	v_add3_u32 v2, v7, v2, v6
	v_add3_u32 v17, v8, v17, v4
	s_and_b32 vcc_lo, exec_lo, s0
	s_cbranch_vccnz .LBB0_9
; %bb.7:                                ;   in Loop: Header=BB0_2 Depth=1
	v_mov_b32_e32 v5, v18
	v_mov_b32_e32 v6, v19
	s_branch .LBB0_2
.LBB0_8:
	v_mov_b32_e32 v17, v2
	v_mov_b32_e32 v19, v6
	;; [unrolled: 1-line block ×4, first 2 shown]
.LBB0_9:
	s_load_dwordx2 s[0:1], s[4:5], 0x28
	v_mul_hi_u32 v3, 0x28f5c29, v0
	s_lshl_b64 s[4:5], s[14:15], 3
                                        ; implicit-def: $vgpr20
	s_add_u32 s2, s18, s4
	s_addc_u32 s3, s19, s5
	s_waitcnt lgkmcnt(0)
	v_cmp_gt_u64_e32 vcc_lo, s[0:1], v[18:19]
	v_cmp_le_u64_e64 s0, s[0:1], v[18:19]
	s_and_saveexec_b32 s1, s0
	s_xor_b32 s0, exec_lo, s1
; %bb.10:
	v_mul_u32_u24_e32 v1, 0x64, v3
                                        ; implicit-def: $vgpr3
	v_sub_nc_u32_e32 v20, v0, v1
                                        ; implicit-def: $vgpr0
                                        ; implicit-def: $vgpr1_vgpr2
; %bb.11:
	s_or_saveexec_b32 s1, s0
	s_load_dwordx2 s[2:3], s[2:3], 0x0
	s_xor_b32 exec_lo, exec_lo, s1
	s_cbranch_execz .LBB0_15
; %bb.12:
	s_add_u32 s4, s16, s4
	s_addc_u32 s5, s17, s5
	v_lshlrev_b64 v[1:2], 4, v[1:2]
	s_load_dwordx2 s[4:5], s[4:5], 0x0
	s_waitcnt lgkmcnt(0)
	v_mul_lo_u32 v6, s5, v18
	v_mul_lo_u32 v7, s4, v19
	v_mad_u64_u32 v[4:5], null, s4, v18, 0
	s_mov_b32 s4, exec_lo
	v_add3_u32 v5, v5, v7, v6
	v_mul_u32_u24_e32 v6, 0x64, v3
	v_lshlrev_b64 v[3:4], 4, v[4:5]
	v_sub_nc_u32_e32 v20, v0, v6
	v_lshlrev_b32_e32 v49, 4, v20
	v_add_co_u32 v0, s0, s8, v3
	v_add_co_ci_u32_e64 v3, s0, s9, v4, s0
	v_add_co_u32 v0, s0, v0, v1
	v_add_co_ci_u32_e64 v1, s0, v3, v2, s0
	;; [unrolled: 2-line block ×3, first 2 shown]
	s_clause 0x1
	global_load_dwordx4 v[2:5], v[10:11], off
	global_load_dwordx4 v[6:9], v[10:11], off offset:1600
	v_add_co_u32 v12, s0, 0x800, v10
	v_add_co_ci_u32_e64 v13, s0, 0, v11, s0
	v_add_co_u32 v14, s0, 0x1000, v10
	v_add_co_ci_u32_e64 v15, s0, 0, v11, s0
	;; [unrolled: 2-line block ×7, first 2 shown]
	s_clause 0x7
	global_load_dwordx4 v[10:13], v[12:13], off offset:1152
	global_load_dwordx4 v[21:24], v[14:15], off offset:704
	;; [unrolled: 1-line block ×8, first 2 shown]
	v_add_nc_u32_e32 v14, 0, v49
	s_waitcnt vmcnt(9)
	ds_write_b128 v14, v[2:5]
	s_waitcnt vmcnt(8)
	ds_write_b128 v14, v[6:9] offset:1600
	s_waitcnt vmcnt(7)
	ds_write_b128 v14, v[10:13] offset:3200
	;; [unrolled: 2-line block ×9, first 2 shown]
	v_cmpx_eq_u32_e32 0x63, v20
	s_cbranch_execz .LBB0_14
; %bb.13:
	v_add_co_u32 v0, s0, 0x3800, v0
	v_add_co_ci_u32_e64 v1, s0, 0, v1, s0
	v_mov_b32_e32 v4, 0
	v_mov_b32_e32 v20, 0x63
	global_load_dwordx4 v[0:3], v[0:1], off offset:1664
	s_waitcnt vmcnt(0)
	ds_write_b128 v4, v[0:3] offset:16000
.LBB0_14:
	s_or_b32 exec_lo, exec_lo, s4
.LBB0_15:
	s_or_b32 exec_lo, exec_lo, s1
	v_lshlrev_b32_e32 v0, 4, v20
	s_waitcnt lgkmcnt(0)
	s_barrier
	buffer_gl0_inv
	s_add_u32 s1, s12, 0x3de0
	v_add_nc_u32_e32 v22, 0, v0
	v_sub_nc_u32_e32 v10, 0, v0
	s_addc_u32 s4, s13, 0
	s_mov_b32 s5, exec_lo
                                        ; implicit-def: $vgpr4_vgpr5
	ds_read_b64 v[6:7], v22
	ds_read_b64 v[8:9], v10 offset:16000
	s_waitcnt lgkmcnt(0)
	v_add_f64 v[0:1], v[6:7], v[8:9]
	v_add_f64 v[2:3], v[6:7], -v[8:9]
	v_cmpx_ne_u32_e32 0, v20
	s_xor_b32 s5, exec_lo, s5
	s_cbranch_execz .LBB0_17
; %bb.16:
	v_mov_b32_e32 v21, 0
	v_add_f64 v[13:14], v[6:7], v[8:9]
	v_add_f64 v[23:24], v[6:7], -v[8:9]
	v_lshlrev_b64 v[0:1], 4, v[20:21]
	v_add_co_u32 v0, s0, s1, v0
	v_add_co_ci_u32_e64 v1, s0, s4, v1, s0
	global_load_dwordx4 v[2:5], v[0:1], off
	ds_read_b64 v[0:1], v10 offset:16008
	ds_read_b64 v[11:12], v22 offset:8
	s_waitcnt lgkmcnt(0)
	v_add_f64 v[6:7], v[0:1], v[11:12]
	v_add_f64 v[0:1], v[11:12], -v[0:1]
	s_waitcnt vmcnt(0)
	v_fma_f64 v[8:9], v[23:24], v[4:5], v[13:14]
	v_fma_f64 v[11:12], -v[23:24], v[4:5], v[13:14]
	v_fma_f64 v[13:14], v[6:7], v[4:5], -v[0:1]
	v_fma_f64 v[4:5], v[6:7], v[4:5], v[0:1]
	v_fma_f64 v[0:1], -v[6:7], v[2:3], v[8:9]
	v_fma_f64 v[6:7], v[6:7], v[2:3], v[11:12]
	v_fma_f64 v[8:9], v[23:24], v[2:3], v[13:14]
	;; [unrolled: 1-line block ×3, first 2 shown]
	v_mov_b32_e32 v4, v20
	v_mov_b32_e32 v5, v21
	ds_write_b128 v10, v[6:9] offset:16000
.LBB0_17:
	s_andn2_saveexec_b32 s0, s5
	s_cbranch_execz .LBB0_19
; %bb.18:
	v_mov_b32_e32 v8, 0
	ds_read_b128 v[4:7], v8 offset:8000
	s_waitcnt lgkmcnt(0)
	v_add_f64 v[11:12], v[4:5], v[4:5]
	v_mul_f64 v[13:14], v[6:7], -2.0
	v_mov_b32_e32 v4, 0
	v_mov_b32_e32 v5, 0
	ds_write_b128 v8, v[11:14] offset:8000
.LBB0_19:
	s_or_b32 exec_lo, exec_lo, s0
	v_lshlrev_b64 v[4:5], 4, v[4:5]
	ds_write_b128 v22, v[0:3]
	s_mov_b32 s6, 0x134454ff
	s_mov_b32 s7, 0xbfee6f0e
	;; [unrolled: 1-line block ×4, first 2 shown]
	v_add_co_u32 v8, s0, s1, v4
	v_add_co_ci_u32_e64 v9, s0, s4, v5, s0
	s_mov_b32 s1, 0x3fee6f0e
	v_add_co_u32 v11, s0, 0x800, v8
	global_load_dwordx4 v[4:7], v[8:9], off offset:1600
	v_add_co_ci_u32_e64 v12, s0, 0, v9, s0
	v_add_co_u32 v23, s0, 0x1000, v8
	v_add_co_ci_u32_e64 v24, s0, 0, v9, s0
	global_load_dwordx4 v[11:14], v[11:12], off offset:1152
	v_add_co_u32 v8, s0, 0x1800, v8
	global_load_dwordx4 v[23:26], v[23:24], off offset:704
	v_add_co_ci_u32_e64 v9, s0, 0, v9, s0
	ds_read_b128 v[0:3], v22 offset:1600
	ds_read_b128 v[27:30], v10 offset:14400
	s_mov_b32 s0, s6
	s_mov_b32 s5, 0x3fe2cf23
	global_load_dwordx4 v[31:34], v[8:9], off offset:256
	s_mov_b32 s4, s8
	s_mov_b32 s14, 0x372fe950
	;; [unrolled: 1-line block ×9, first 2 shown]
	v_and_b32_e32 v21, 0xff, v20
	v_mul_lo_u16 v21, 0xcd, v21
	s_waitcnt lgkmcnt(0)
	v_add_f64 v[8:9], v[0:1], v[27:28]
	v_add_f64 v[35:36], v[29:30], v[2:3]
	v_add_f64 v[27:28], v[0:1], -v[27:28]
	v_add_f64 v[0:1], v[2:3], -v[29:30]
	s_waitcnt vmcnt(3)
	v_fma_f64 v[2:3], v[27:28], v[6:7], v[8:9]
	v_fma_f64 v[29:30], v[35:36], v[6:7], v[0:1]
	v_fma_f64 v[8:9], -v[27:28], v[6:7], v[8:9]
	v_fma_f64 v[37:38], v[35:36], v[6:7], -v[0:1]
	v_fma_f64 v[0:1], -v[35:36], v[4:5], v[2:3]
	v_fma_f64 v[2:3], v[27:28], v[4:5], v[29:30]
	v_fma_f64 v[6:7], v[35:36], v[4:5], v[8:9]
	v_fma_f64 v[8:9], v[27:28], v[4:5], v[37:38]
	ds_write_b128 v22, v[0:3] offset:1600
	ds_write_b128 v10, v[6:9] offset:14400
	ds_read_b128 v[0:3], v22 offset:3200
	ds_read_b128 v[4:7], v10 offset:12800
	s_waitcnt lgkmcnt(0)
	v_add_f64 v[8:9], v[0:1], v[4:5]
	v_add_f64 v[27:28], v[6:7], v[2:3]
	v_add_f64 v[29:30], v[0:1], -v[4:5]
	v_add_f64 v[0:1], v[2:3], -v[6:7]
	s_waitcnt vmcnt(2)
	v_fma_f64 v[2:3], v[29:30], v[13:14], v[8:9]
	v_fma_f64 v[4:5], v[27:28], v[13:14], v[0:1]
	v_fma_f64 v[6:7], -v[29:30], v[13:14], v[8:9]
	v_fma_f64 v[8:9], v[27:28], v[13:14], -v[0:1]
	v_fma_f64 v[0:1], -v[27:28], v[11:12], v[2:3]
	v_fma_f64 v[2:3], v[29:30], v[11:12], v[4:5]
	v_fma_f64 v[4:5], v[27:28], v[11:12], v[6:7]
	v_fma_f64 v[6:7], v[29:30], v[11:12], v[8:9]
	ds_write_b128 v22, v[0:3] offset:3200
	ds_write_b128 v10, v[4:7] offset:12800
	ds_read_b128 v[0:3], v22 offset:4800
	ds_read_b128 v[4:7], v10 offset:11200
	;; [unrolled: 18-line block ×3, first 2 shown]
	s_waitcnt lgkmcnt(0)
	v_add_f64 v[8:9], v[0:1], v[4:5]
	v_add_f64 v[11:12], v[6:7], v[2:3]
	v_add_f64 v[13:14], v[0:1], -v[4:5]
	v_add_f64 v[0:1], v[2:3], -v[6:7]
	s_waitcnt vmcnt(0)
	v_fma_f64 v[2:3], v[13:14], v[33:34], v[8:9]
	v_fma_f64 v[4:5], v[11:12], v[33:34], v[0:1]
	v_fma_f64 v[6:7], -v[13:14], v[33:34], v[8:9]
	v_fma_f64 v[8:9], v[11:12], v[33:34], -v[0:1]
	v_fma_f64 v[0:1], -v[11:12], v[31:32], v[2:3]
	v_fma_f64 v[2:3], v[13:14], v[31:32], v[4:5]
	v_fma_f64 v[4:5], v[11:12], v[31:32], v[6:7]
	;; [unrolled: 1-line block ×3, first 2 shown]
	ds_write_b128 v22, v[0:3] offset:6400
	ds_write_b128 v10, v[4:7] offset:9600
	s_waitcnt lgkmcnt(0)
	s_barrier
	buffer_gl0_inv
	s_barrier
	buffer_gl0_inv
	ds_read_b128 v[23:26], v22 offset:8000
	ds_read_b128 v[8:11], v22 offset:11200
	ds_read_b128 v[27:30], v22 offset:4800
	ds_read_b128 v[0:3], v22 offset:14400
	ds_read_b128 v[31:34], v22 offset:3200
	ds_read_b128 v[35:38], v22
	ds_read_b128 v[39:42], v22 offset:6400
	ds_read_b128 v[12:15], v22 offset:9600
	ds_read_b128 v[4:7], v22 offset:12800
	ds_read_b128 v[43:46], v22 offset:1600
	s_waitcnt lgkmcnt(0)
	s_barrier
	buffer_gl0_inv
	v_add_f64 v[47:48], v[25:26], v[10:11]
	v_add_f64 v[51:52], v[23:24], v[8:9]
	;; [unrolled: 1-line block ×10, first 2 shown]
	v_add_f64 v[75:76], v[27:28], -v[0:1]
	v_add_f64 v[81:82], v[23:24], -v[8:9]
	;; [unrolled: 1-line block ×10, first 2 shown]
	v_add_f64 v[85:86], v[43:44], v[27:28]
	v_add_f64 v[87:88], v[27:28], -v[23:24]
	v_fma_f64 v[47:48], v[47:48], -0.5, v[45:46]
	v_fma_f64 v[51:52], v[51:52], -0.5, v[43:44]
	;; [unrolled: 1-line block ×3, first 2 shown]
	v_add_f64 v[89:90], v[29:30], -v[25:26]
	v_add_f64 v[91:92], v[0:1], -v[8:9]
	;; [unrolled: 1-line block ×3, first 2 shown]
	v_add_f64 v[39:40], v[53:54], v[39:40]
	v_add_f64 v[41:42], v[55:56], v[41:42]
	v_add_f64 v[53:54], v[25:26], -v[29:30]
	v_add_f64 v[55:56], v[10:11], -v[2:3]
	v_fma_f64 v[43:44], v[69:70], -0.5, v[43:44]
	v_add_f64 v[29:30], v[45:46], v[29:30]
	v_add_f64 v[45:46], v[25:26], -v[10:11]
	v_fma_f64 v[57:58], v[57:58], -0.5, v[35:36]
	v_fma_f64 v[35:36], v[59:60], -0.5, v[35:36]
	v_fma_f64 v[61:62], v[61:62], -0.5, v[37:38]
	v_fma_f64 v[37:38], v[63:64], -0.5, v[37:38]
	v_add_f64 v[31:32], v[31:32], -v[4:5]
	v_add_f64 v[27:28], v[23:24], -v[27:28]
	v_add_f64 v[23:24], v[85:86], v[23:24]
	v_fma_f64 v[59:60], v[75:76], s[0:1], v[47:48]
	v_fma_f64 v[47:48], v[75:76], s[6:7], v[47:48]
	;; [unrolled: 1-line block ×5, first 2 shown]
	v_add_f64 v[87:88], v[87:88], v[91:92]
	v_add_f64 v[91:92], v[4:5], -v[12:13]
	v_add_f64 v[89:90], v[89:90], v[93:94]
	v_add_f64 v[93:94], v[12:13], -v[4:5]
	;; [unrolled: 2-line block ×3, first 2 shown]
	v_fma_f64 v[51:52], v[83:84], s[0:1], v[51:52]
	v_add_f64 v[25:26], v[29:30], v[25:26]
	v_add_f64 v[29:30], v[14:15], -v[6:7]
	v_fma_f64 v[85:86], v[77:78], s[0:1], v[35:36]
	v_fma_f64 v[35:36], v[77:78], s[6:7], v[35:36]
	v_add_f64 v[12:13], v[39:40], v[12:13]
	v_add_f64 v[23:24], v[23:24], v[8:9]
	v_lshrrev_b16 v8, 11, v21
	v_fma_f64 v[59:60], v[81:82], s[4:5], v[59:60]
	v_fma_f64 v[47:48], v[81:82], s[8:9], v[47:48]
	;; [unrolled: 1-line block ×7, first 2 shown]
	v_add_f64 v[75:76], v[6:7], -v[14:15]
	v_add_f64 v[67:68], v[67:68], v[91:92]
	v_fma_f64 v[91:92], v[31:32], s[0:1], v[61:62]
	v_add_f64 v[27:28], v[27:28], v[55:56]
	v_fma_f64 v[55:56], v[65:66], s[6:7], v[57:58]
	v_fma_f64 v[57:58], v[65:66], s[0:1], v[57:58]
	;; [unrolled: 1-line block ×3, first 2 shown]
	v_add_f64 v[71:72], v[71:72], v[93:94]
	v_fma_f64 v[93:94], v[79:80], s[6:7], v[37:38]
	v_fma_f64 v[37:38], v[79:80], s[0:1], v[37:38]
	;; [unrolled: 1-line block ×3, first 2 shown]
	v_add_f64 v[14:15], v[41:42], v[14:15]
	v_add_f64 v[9:10], v[25:26], v[10:11]
	;; [unrolled: 1-line block ×3, first 2 shown]
	v_fma_f64 v[39:40], v[65:66], s[8:9], v[85:86]
	v_fma_f64 v[59:60], v[89:90], s[14:15], v[59:60]
	;; [unrolled: 1-line block ×8, first 2 shown]
	v_add_f64 v[51:52], v[73:74], v[75:76]
	v_fma_f64 v[35:36], v[65:66], s[4:5], v[35:36]
	v_fma_f64 v[41:42], v[79:80], s[4:5], v[91:92]
	v_add_f64 v[11:12], v[12:13], v[4:5]
	v_fma_f64 v[25:26], v[77:78], s[8:9], v[55:56]
	v_fma_f64 v[33:34], v[77:78], s[4:5], v[57:58]
	;; [unrolled: 1-line block ×6, first 2 shown]
	v_add_f64 v[5:6], v[14:15], v[6:7]
	v_add_f64 v[13:14], v[23:24], v[0:1]
	;; [unrolled: 1-line block ×3, first 2 shown]
	v_fma_f64 v[77:78], v[71:72], s[14:15], v[39:40]
	v_mul_lo_u16 v0, v8, 10
	v_mul_f64 v[45:46], v[47:48], s[8:9]
	v_fma_f64 v[61:62], v[27:28], s[14:15], v[81:82]
	v_fma_f64 v[27:28], v[27:28], s[14:15], v[43:44]
	v_mul_f64 v[43:44], v[59:60], s[8:9]
	v_mul_f64 v[65:66], v[63:64], s[6:7]
	;; [unrolled: 1-line block ×7, first 2 shown]
	v_fma_f64 v[75:76], v[67:68], s[14:15], v[25:26]
	v_fma_f64 v[67:68], v[67:68], s[14:15], v[33:34]
	;; [unrolled: 1-line block ×5, first 2 shown]
	v_mov_b32_e32 v7, 9
	v_sub_nc_u16 v0, v20, v0
	v_mov_b32_e32 v15, 4
	v_add_f64 v[1:2], v[11:12], v[13:14]
	v_add_f64 v[3:4], v[5:6], v[23:24]
	v_add_f64 v[9:10], v[11:12], -v[13:14]
	v_add_f64 v[11:12], v[5:6], -v[23:24]
	v_fma_f64 v[45:46], v[37:38], s[20:21], v[45:46]
	v_mul_u32_u24_sdwa v5, v0, v7 dst_sel:DWORD dst_unused:UNUSED_PAD src0_sel:BYTE_0 src1_sel:DWORD
	v_mad_u32_u24 v6, 0x90, v20, v22
	v_fma_f64 v[35:36], v[53:54], s[16:17], v[43:44]
	v_fma_f64 v[43:44], v[61:62], s[14:15], v[65:66]
	;; [unrolled: 1-line block ×9, first 2 shown]
	v_lshlrev_b32_e32 v5, 4, v5
	v_mov_b32_e32 v7, 0x640
	v_lshlrev_b32_sdwa v0, v15, v0 dst_sel:DWORD dst_unused:UNUSED_PAD src0_sel:DWORD src1_sel:BYTE_0
	v_add_f64 v[23:24], v[75:76], v[35:36]
	v_add_f64 v[27:28], v[77:78], v[43:44]
	;; [unrolled: 1-line block ×3, first 2 shown]
	v_add_f64 v[37:38], v[33:34], -v[39:40]
	v_add_f64 v[29:30], v[53:54], v[59:60]
	v_add_f64 v[31:32], v[71:72], v[51:52]
	;; [unrolled: 1-line block ×5, first 2 shown]
	v_add_f64 v[35:36], v[75:76], -v[35:36]
	v_add_f64 v[43:44], v[77:78], -v[43:44]
	;; [unrolled: 1-line block ×7, first 2 shown]
	ds_write_b128 v6, v[1:4]
	ds_write_b128 v6, v[9:12] offset:80
	ds_write_b128 v6, v[23:26] offset:16
	;; [unrolled: 1-line block ×9, first 2 shown]
	s_waitcnt lgkmcnt(0)
	s_barrier
	buffer_gl0_inv
	s_clause 0x8
	global_load_dwordx4 v[1:4], v5, s[12:13] offset:16
	global_load_dwordx4 v[9:12], v5, s[12:13] offset:48
	global_load_dwordx4 v[23:26], v5, s[12:13] offset:80
	global_load_dwordx4 v[27:30], v5, s[12:13] offset:32
	global_load_dwordx4 v[31:34], v5, s[12:13] offset:64
	global_load_dwordx4 v[35:38], v5, s[12:13] offset:96
	global_load_dwordx4 v[39:42], v5, s[12:13] offset:128
	global_load_dwordx4 v[43:46], v5, s[12:13] offset:112
	global_load_dwordx4 v[47:50], v5, s[12:13]
	ds_read_b128 v[51:54], v22 offset:3200
	ds_read_b128 v[55:58], v22 offset:6400
	;; [unrolled: 1-line block ×4, first 2 shown]
	s_waitcnt vmcnt(8) lgkmcnt(3)
	v_mul_f64 v[79:80], v[53:54], v[3:4]
	v_mul_f64 v[81:82], v[51:52], v[3:4]
	ds_read_b128 v[3:6], v22 offset:8000
	ds_read_b128 v[67:70], v22 offset:11200
	;; [unrolled: 1-line block ×4, first 2 shown]
	s_waitcnt vmcnt(7) lgkmcnt(6)
	v_mul_f64 v[83:84], v[57:58], v[11:12]
	v_mul_f64 v[85:86], v[55:56], v[11:12]
	s_waitcnt vmcnt(6) lgkmcnt(5)
	v_mul_f64 v[87:88], v[61:62], v[25:26]
	v_mul_f64 v[25:26], v[59:60], v[25:26]
	s_waitcnt vmcnt(5) lgkmcnt(4)
	v_mul_f64 v[89:90], v[63:64], v[29:30]
	ds_read_b128 v[11:14], v22 offset:1600
	s_waitcnt vmcnt(3) lgkmcnt(3)
	v_mul_f64 v[91:92], v[67:68], v[37:38]
	s_waitcnt vmcnt(2) lgkmcnt(2)
	v_mul_f64 v[93:94], v[71:72], v[41:42]
	v_fma_f64 v[79:80], v[51:52], v[1:2], v[79:80]
	v_fma_f64 v[1:2], v[53:54], v[1:2], -v[81:82]
	ds_read_b128 v[51:54], v22
	v_mul_f64 v[81:82], v[3:4], v[33:34]
	s_waitcnt vmcnt(1) lgkmcnt(2)
	v_mul_f64 v[95:96], v[77:78], v[45:46]
	v_fma_f64 v[55:56], v[55:56], v[9:10], v[83:84]
	v_fma_f64 v[9:10], v[57:58], v[9:10], -v[85:86]
	v_mul_f64 v[45:46], v[75:76], v[45:46]
	s_waitcnt vmcnt(0) lgkmcnt(1)
	v_mul_f64 v[57:58], v[11:12], v[49:50]
	v_fma_f64 v[59:60], v[59:60], v[23:24], v[87:88]
	v_fma_f64 v[23:24], v[61:62], v[23:24], -v[25:26]
	v_mul_f64 v[25:26], v[65:66], v[29:30]
	v_mul_f64 v[29:30], v[73:74], v[41:42]
	v_mul_f64 v[33:34], v[5:6], v[33:34]
	v_mul_f64 v[37:38], v[69:70], v[37:38]
	v_fma_f64 v[41:42], v[65:66], v[27:28], -v[89:90]
	s_waitcnt lgkmcnt(0)
	s_barrier
	buffer_gl0_inv
	v_fma_f64 v[61:62], v[69:70], v[35:36], -v[91:92]
	v_fma_f64 v[65:66], v[73:74], v[39:40], -v[93:94]
	;; [unrolled: 1-line block ×3, first 2 shown]
	v_fma_f64 v[69:70], v[75:76], v[43:44], v[95:96]
	v_fma_f64 v[43:44], v[77:78], v[43:44], -v[45:46]
	v_mul_f64 v[45:46], v[13:14], v[49:50]
	v_fma_f64 v[13:14], v[13:14], v[47:48], -v[57:58]
	v_add_f64 v[57:58], v[51:52], v[79:80]
	v_fma_f64 v[25:26], v[63:64], v[27:28], v[25:26]
	v_fma_f64 v[27:28], v[71:72], v[39:40], v[29:30]
	;; [unrolled: 1-line block ×4, first 2 shown]
	v_add_f64 v[35:36], v[55:56], v[59:60]
	v_add_f64 v[39:40], v[9:10], v[23:24]
	v_add_f64 v[71:72], v[55:56], -v[79:80]
	v_add_f64 v[63:64], v[53:54], v[1:2]
	v_add_f64 v[33:34], v[41:42], v[65:66]
	v_add_f64 v[93:94], v[65:66], -v[61:62]
	v_add_f64 v[31:32], v[5:6], v[61:62]
	v_add_f64 v[49:50], v[69:70], -v[59:60]
	v_add_f64 v[37:38], v[79:80], v[69:70]
	v_add_f64 v[81:82], v[59:60], -v[69:70]
	v_add_f64 v[91:92], v[41:42], -v[5:6]
	v_fma_f64 v[11:12], v[11:12], v[47:48], v[45:46]
	v_add_f64 v[47:48], v[79:80], -v[55:56]
	v_add_f64 v[45:46], v[1:2], v[43:44]
	v_add_f64 v[95:96], v[5:6], -v[41:42]
	v_add_f64 v[67:68], v[25:26], v[27:28]
	;; [unrolled: 2-line block ×3, first 2 shown]
	v_add_f64 v[75:76], v[3:4], -v[29:30]
	v_add_f64 v[83:84], v[25:26], -v[3:4]
	;; [unrolled: 1-line block ×5, first 2 shown]
	v_fma_f64 v[35:36], v[35:36], -0.5, v[51:52]
	v_fma_f64 v[33:34], v[33:34], -0.5, v[13:14]
	;; [unrolled: 1-line block ×3, first 2 shown]
	v_add_f64 v[79:80], v[79:80], -v[69:70]
	v_fma_f64 v[31:32], v[31:32], -0.5, v[13:14]
	v_add_f64 v[13:14], v[13:14], v[41:42]
	v_add_f64 v[41:42], v[41:42], -v[65:66]
	v_fma_f64 v[37:38], v[37:38], -0.5, v[51:52]
	v_add_f64 v[51:52], v[61:62], -v[65:66]
	v_add_f64 v[25:26], v[11:12], v[25:26]
	v_add_f64 v[47:48], v[47:48], v[49:50]
	v_fma_f64 v[45:46], v[45:46], -0.5, v[53:54]
	v_add_f64 v[53:54], v[5:6], -v[61:62]
	v_fma_f64 v[67:68], v[67:68], -0.5, v[11:12]
	v_add_f64 v[71:72], v[71:72], v[81:82]
	v_fma_f64 v[11:12], v[73:74], -0.5, v[11:12]
	v_add_f64 v[81:82], v[55:56], -v[59:60]
	v_add_f64 v[91:92], v[91:92], v[93:94]
	v_add_f64 v[83:84], v[83:84], v[85:86]
	v_add_f64 v[85:86], v[1:2], -v[43:44]
	v_add_f64 v[87:88], v[87:88], v[89:90]
	v_add_f64 v[89:90], v[9:10], -v[23:24]
	v_fma_f64 v[73:74], v[75:76], s[6:7], v[33:34]
	v_fma_f64 v[33:34], v[75:76], s[0:1], v[33:34]
	v_add_f64 v[55:56], v[57:58], v[55:56]
	v_fma_f64 v[49:50], v[77:78], s[0:1], v[31:32]
	v_fma_f64 v[31:32], v[77:78], s[6:7], v[31:32]
	v_add_f64 v[5:6], v[13:14], v[5:6]
	v_add_f64 v[51:52], v[95:96], v[51:52]
	v_add_f64 v[95:96], v[1:2], -v[9:10]
	v_add_f64 v[1:2], v[9:10], -v[1:2]
	v_add_f64 v[9:10], v[63:64], v[9:10]
	v_add_f64 v[3:4], v[25:26], v[3:4]
	v_fma_f64 v[93:94], v[53:54], s[0:1], v[67:68]
	v_fma_f64 v[67:68], v[53:54], s[6:7], v[67:68]
	;; [unrolled: 1-line block ×11, first 2 shown]
	v_add_f64 v[77:78], v[43:44], -v[23:24]
	v_fma_f64 v[37:38], v[89:90], s[6:7], v[37:38]
	v_fma_f64 v[49:50], v[75:76], s[4:5], v[49:50]
	v_fma_f64 v[31:32], v[75:76], s[8:9], v[31:32]
	v_add_f64 v[75:76], v[23:24], -v[43:44]
	v_add_f64 v[5:6], v[5:6], v[61:62]
	v_add_f64 v[9:10], v[9:10], v[23:24]
	;; [unrolled: 1-line block ×3, first 2 shown]
	v_fma_f64 v[93:94], v[41:42], s[8:9], v[93:94]
	v_fma_f64 v[41:42], v[41:42], s[4:5], v[67:68]
	;; [unrolled: 1-line block ×6, first 2 shown]
	v_add_f64 v[53:54], v[55:56], v[59:60]
	v_fma_f64 v[13:14], v[89:90], s[8:9], v[13:14]
	v_fma_f64 v[23:24], v[89:90], s[4:5], v[25:26]
	;; [unrolled: 1-line block ×4, first 2 shown]
	v_add_f64 v[51:52], v[95:96], v[77:78]
	v_fma_f64 v[25:26], v[85:86], s[8:9], v[35:36]
	v_fma_f64 v[49:50], v[91:92], s[14:15], v[49:50]
	;; [unrolled: 1-line block ×6, first 2 shown]
	v_add_f64 v[1:2], v[1:2], v[75:76]
	v_add_f64 v[5:6], v[5:6], v[65:66]
	;; [unrolled: 1-line block ×4, first 2 shown]
	v_fma_f64 v[41:42], v[87:88], s[14:15], v[41:42]
	v_fma_f64 v[55:56], v[83:84], s[14:15], v[57:58]
	v_fma_f64 v[39:40], v[79:80], s[4:5], v[67:68]
	v_fma_f64 v[57:58], v[87:88], s[14:15], v[93:94]
	v_fma_f64 v[45:46], v[79:80], s[8:9], v[45:46]
	v_fma_f64 v[11:12], v[83:84], s[14:15], v[11:12]
	v_add_f64 v[53:54], v[53:54], v[69:70]
	v_fma_f64 v[13:14], v[47:48], s[14:15], v[13:14]
	v_mul_f64 v[61:62], v[73:74], s[6:7]
	v_mul_f64 v[73:74], v[73:74], s[14:15]
	;; [unrolled: 1-line block ×8, first 2 shown]
	v_fma_f64 v[65:66], v[47:48], s[14:15], v[23:24]
	v_fma_f64 v[47:48], v[71:72], s[14:15], v[25:26]
	v_fma_f64 v[69:70], v[71:72], s[14:15], v[29:30]
	v_fma_f64 v[29:30], v[51:52], s[14:15], v[35:36]
	v_fma_f64 v[71:72], v[51:52], s[14:15], v[37:38]
	v_add_f64 v[3:4], v[43:44], v[5:6]
	v_fma_f64 v[51:52], v[57:58], s[14:15], v[61:62]
	v_fma_f64 v[57:58], v[57:58], s[0:1], v[73:74]
	;; [unrolled: 1-line block ×10, first 2 shown]
	v_add_f64 v[1:2], v[53:54], v[9:10]
	v_add_f64 v[9:10], v[53:54], -v[9:10]
	v_add_f64 v[11:12], v[43:44], -v[5:6]
	v_mul_u32_u24_sdwa v5, v8, v7 dst_sel:DWORD dst_unused:UNUSED_PAD src0_sel:WORD_0 src1_sel:DWORD
	v_mul_u32_u24_e32 v6, 9, v20
	v_add3_u32 v0, 0, v5, v0
	v_lshlrev_b32_e32 v21, 4, v6
	v_add_f64 v[27:28], v[47:48], v[51:52]
	v_add_f64 v[43:44], v[47:48], -v[51:52]
	v_add_f64 v[23:24], v[13:14], v[35:36]
	v_add_f64 v[25:26], v[29:30], v[37:38]
	v_add_f64 v[37:38], v[29:30], -v[37:38]
	v_add_f64 v[29:30], v[49:50], v[57:58]
	v_add_f64 v[31:32], v[69:70], v[59:60]
	;; [unrolled: 1-line block ×5, first 2 shown]
	v_add_f64 v[35:36], v[13:14], -v[35:36]
	v_add_f64 v[51:52], v[65:66], -v[45:46]
	;; [unrolled: 1-line block ×6, first 2 shown]
	ds_write_b128 v0, v[1:4]
	ds_write_b128 v0, v[9:12] offset:800
	ds_write_b128 v0, v[23:26] offset:160
	ds_write_b128 v0, v[27:30] offset:320
	ds_write_b128 v0, v[31:34] offset:480
	ds_write_b128 v0, v[39:42] offset:640
	ds_write_b128 v0, v[35:38] offset:960
	ds_write_b128 v0, v[43:46] offset:1120
	ds_write_b128 v0, v[47:50] offset:1280
	ds_write_b128 v0, v[51:54] offset:1440
	s_waitcnt lgkmcnt(0)
	s_barrier
	buffer_gl0_inv
	s_clause 0x8
	global_load_dwordx4 v[0:3], v21, s[12:13] offset:1456
	global_load_dwordx4 v[4:7], v21, s[12:13] offset:1488
	;; [unrolled: 1-line block ×9, first 2 shown]
	ds_read_b128 v[43:46], v22 offset:3200
	ds_read_b128 v[47:50], v22 offset:6400
	;; [unrolled: 1-line block ×9, first 2 shown]
	s_waitcnt vmcnt(8) lgkmcnt(8)
	v_mul_f64 v[79:80], v[45:46], v[2:3]
	s_waitcnt vmcnt(7) lgkmcnt(7)
	v_mul_f64 v[81:82], v[49:50], v[6:7]
	v_mul_f64 v[6:7], v[47:48], v[6:7]
	s_waitcnt vmcnt(6) lgkmcnt(6)
	v_mul_f64 v[83:84], v[53:54], v[10:11]
	;; [unrolled: 3-line block ×3, first 2 shown]
	s_waitcnt vmcnt(4) lgkmcnt(3)
	v_mul_f64 v[87:88], v[63:64], v[25:26]
	v_mul_f64 v[2:3], v[43:44], v[2:3]
	s_waitcnt vmcnt(2) lgkmcnt(2)
	v_mul_f64 v[89:90], v[67:68], v[33:34]
	v_fma_f64 v[43:44], v[43:44], v[0:1], v[79:80]
	v_mul_f64 v[79:80], v[55:56], v[29:30]
	v_fma_f64 v[47:48], v[47:48], v[4:5], v[81:82]
	v_fma_f64 v[4:5], v[49:50], v[4:5], -v[6:7]
	s_waitcnt vmcnt(1) lgkmcnt(1)
	v_mul_f64 v[6:7], v[71:72], v[37:38]
	s_waitcnt vmcnt(0) lgkmcnt(0)
	v_mul_f64 v[49:50], v[77:78], v[41:42]
	v_mul_f64 v[41:42], v[75:76], v[41:42]
	;; [unrolled: 1-line block ×3, first 2 shown]
	v_fma_f64 v[51:52], v[51:52], v[8:9], v[83:84]
	v_fma_f64 v[8:9], v[53:54], v[8:9], -v[10:11]
	v_mul_f64 v[10:11], v[61:62], v[14:15]
	v_mul_f64 v[14:15], v[65:66], v[25:26]
	;; [unrolled: 1-line block ×3, first 2 shown]
	v_fma_f64 v[33:34], v[61:62], v[12:13], -v[85:86]
	v_fma_f64 v[53:54], v[65:66], v[23:24], -v[87:88]
	;; [unrolled: 1-line block ×4, first 2 shown]
	v_mul_f64 v[37:38], v[73:74], v[37:38]
	ds_read_b128 v[0:3], v22
	s_waitcnt lgkmcnt(0)
	s_barrier
	buffer_gl0_inv
	v_fma_f64 v[57:58], v[57:58], v[27:28], -v[79:80]
	v_fma_f64 v[6:7], v[73:74], v[35:36], -v[6:7]
	v_fma_f64 v[49:50], v[75:76], v[39:40], v[49:50]
	v_fma_f64 v[39:40], v[77:78], v[39:40], -v[41:42]
	v_fma_f64 v[27:28], v[55:56], v[27:28], v[29:30]
	v_add_f64 v[73:74], v[47:48], -v[43:44]
	v_add_f64 v[55:56], v[43:44], -v[47:48]
	v_fma_f64 v[10:11], v[59:60], v[12:13], v[10:11]
	v_fma_f64 v[12:13], v[63:64], v[23:24], v[14:15]
	;; [unrolled: 1-line block ×3, first 2 shown]
	v_add_f64 v[31:32], v[47:48], v[51:52]
	v_add_f64 v[23:24], v[33:34], v[53:54]
	v_add_f64 v[85:86], v[61:62], -v[53:54]
	v_add_f64 v[75:76], v[2:3], v[45:46]
	v_fma_f64 v[29:30], v[71:72], v[35:36], v[37:38]
	v_add_f64 v[37:38], v[4:5], v[8:9]
	v_add_f64 v[71:72], v[0:1], v[43:44]
	v_add_f64 v[89:90], v[53:54], -v[61:62]
	v_add_f64 v[91:92], v[33:34], -v[53:54]
	v_add_f64 v[25:26], v[57:58], v[61:62]
	v_add_f64 v[83:84], v[57:58], -v[33:34]
	v_add_f64 v[87:88], v[33:34], -v[57:58]
	;; [unrolled: 1-line block ×3, first 2 shown]
	v_add_f64 v[35:36], v[43:44], v[49:50]
	v_add_f64 v[41:42], v[45:46], v[39:40]
	v_add_f64 v[77:78], v[51:52], -v[49:50]
	v_add_f64 v[65:66], v[49:50], -v[51:52]
	v_add_f64 v[43:44], v[43:44], -v[49:50]
	v_add_f64 v[79:80], v[27:28], -v[10:11]
	v_add_f64 v[59:60], v[10:11], v[12:13]
	v_add_f64 v[63:64], v[27:28], -v[14:15]
	v_add_f64 v[67:68], v[27:28], v[14:15]
	v_fma_f64 v[23:24], v[23:24], -0.5, v[6:7]
	v_add_f64 v[69:70], v[10:11], -v[12:13]
	v_add_f64 v[81:82], v[14:15], -v[12:13]
	v_fma_f64 v[31:32], v[31:32], -0.5, v[0:1]
	v_fma_f64 v[25:26], v[25:26], -0.5, v[6:7]
	v_add_f64 v[6:7], v[6:7], v[57:58]
	v_add_f64 v[83:84], v[83:84], v[85:86]
	v_add_f64 v[85:86], v[47:48], -v[51:52]
	v_fma_f64 v[0:1], v[35:36], -0.5, v[0:1]
	v_fma_f64 v[35:36], v[37:38], -0.5, v[2:3]
	;; [unrolled: 1-line block ×3, first 2 shown]
	v_add_f64 v[73:74], v[73:74], v[77:78]
	v_add_f64 v[77:78], v[45:46], -v[39:40]
	v_add_f64 v[87:88], v[87:88], v[89:90]
	v_fma_f64 v[37:38], v[59:60], -0.5, v[29:30]
	v_add_f64 v[57:58], v[12:13], -v[14:15]
	v_fma_f64 v[59:60], v[67:68], -0.5, v[29:30]
	v_fma_f64 v[41:42], v[63:64], s[0:1], v[23:24]
	v_fma_f64 v[23:24], v[63:64], s[6:7], v[23:24]
	v_add_f64 v[29:30], v[29:30], v[27:28]
	v_add_f64 v[79:80], v[79:80], v[81:82]
	v_add_f64 v[81:82], v[4:5], -v[8:9]
	v_add_f64 v[27:28], v[10:11], -v[27:28]
	v_add_f64 v[55:56], v[55:56], v[65:66]
	v_add_f64 v[65:66], v[45:46], -v[4:5]
	v_add_f64 v[45:46], v[4:5], -v[45:46]
	v_fma_f64 v[67:68], v[69:70], s[6:7], v[25:26]
	v_fma_f64 v[25:26], v[69:70], s[0:1], v[25:26]
	v_add_f64 v[47:48], v[71:72], v[47:48]
	v_add_f64 v[4:5], v[75:76], v[4:5]
	;; [unrolled: 1-line block ×3, first 2 shown]
	v_fma_f64 v[71:72], v[43:44], s[0:1], v[35:36]
	v_fma_f64 v[35:36], v[43:44], s[6:7], v[35:36]
	v_fma_f64 v[75:76], v[85:86], s[6:7], v[2:3]
	v_fma_f64 v[2:3], v[85:86], s[0:1], v[2:3]
	v_fma_f64 v[89:90], v[93:94], s[6:7], v[37:38]
	v_fma_f64 v[37:38], v[93:94], s[0:1], v[37:38]
	v_fma_f64 v[41:42], v[69:70], s[4:5], v[41:42]
	v_fma_f64 v[23:24], v[69:70], s[8:9], v[23:24]
	v_fma_f64 v[69:70], v[91:92], s[0:1], v[59:60]
	v_fma_f64 v[59:60], v[91:92], s[6:7], v[59:60]
	v_add_f64 v[10:11], v[29:30], v[10:11]
	v_fma_f64 v[29:30], v[77:78], s[6:7], v[31:32]
	v_fma_f64 v[31:32], v[77:78], s[0:1], v[31:32]
	;; [unrolled: 1-line block ×3, first 2 shown]
	v_add_f64 v[27:28], v[27:28], v[57:58]
	v_fma_f64 v[67:68], v[63:64], s[4:5], v[67:68]
	v_fma_f64 v[25:26], v[63:64], s[8:9], v[25:26]
	v_add_f64 v[63:64], v[39:40], -v[8:9]
	v_add_f64 v[57:58], v[8:9], -v[39:40]
	v_fma_f64 v[0:1], v[81:82], s[6:7], v[0:1]
	v_add_f64 v[47:48], v[47:48], v[51:52]
	v_add_f64 v[4:5], v[4:5], v[8:9]
	v_add_f64 v[6:7], v[6:7], v[53:54]
	v_fma_f64 v[2:3], v[43:44], s[8:9], v[2:3]
	v_fma_f64 v[89:90], v[91:92], s[8:9], v[89:90]
	;; [unrolled: 1-line block ×7, first 2 shown]
	v_add_f64 v[8:9], v[10:11], v[12:13]
	v_fma_f64 v[10:11], v[81:82], s[8:9], v[29:30]
	v_fma_f64 v[12:13], v[81:82], s[4:5], v[31:32]
	;; [unrolled: 1-line block ×6, first 2 shown]
	v_add_f64 v[63:64], v[65:66], v[63:64]
	v_fma_f64 v[33:34], v[85:86], s[8:9], v[35:36]
	v_fma_f64 v[35:36], v[43:44], s[4:5], v[75:76]
	v_add_f64 v[45:46], v[45:46], v[57:58]
	v_fma_f64 v[0:1], v[77:78], s[4:5], v[0:1]
	v_add_f64 v[47:48], v[47:48], v[49:50]
	v_add_f64 v[39:40], v[4:5], v[39:40]
	;; [unrolled: 1-line block ×3, first 2 shown]
	v_fma_f64 v[43:44], v[79:80], s[14:15], v[89:90]
	v_fma_f64 v[37:38], v[79:80], s[14:15], v[37:38]
	v_mul_f64 v[53:54], v[41:42], s[8:9]
	v_mul_f64 v[41:42], v[41:42], s[16:17]
	v_fma_f64 v[51:52], v[27:28], s[14:15], v[69:70]
	v_fma_f64 v[27:28], v[27:28], s[14:15], v[59:60]
	v_mul_f64 v[65:66], v[23:24], s[8:9]
	v_mul_f64 v[23:24], v[23:24], s[20:21]
	v_add_f64 v[4:5], v[8:9], v[14:15]
	v_fma_f64 v[49:50], v[55:56], s[14:15], v[10:11]
	v_fma_f64 v[61:62], v[73:74], s[14:15], v[29:30]
	v_mul_f64 v[57:58], v[67:68], s[6:7]
	v_mul_f64 v[67:68], v[67:68], s[14:15]
	;; [unrolled: 1-line block ×4, first 2 shown]
	v_fma_f64 v[71:72], v[63:64], s[14:15], v[31:32]
	v_fma_f64 v[63:64], v[63:64], s[14:15], v[33:34]
	;; [unrolled: 1-line block ×6, first 2 shown]
	v_add_f64 v[2:3], v[39:40], v[6:7]
	v_add_f64 v[6:7], v[39:40], -v[6:7]
	v_fma_f64 v[31:32], v[43:44], s[16:17], v[53:54]
	v_fma_f64 v[41:42], v[43:44], s[4:5], v[41:42]
	v_add_f64 v[0:1], v[47:48], v[4:5]
	v_add_f64 v[4:5], v[47:48], -v[4:5]
	v_fma_f64 v[33:34], v[51:52], s[14:15], v[57:58]
	v_fma_f64 v[51:52], v[51:52], s[0:1], v[67:68]
	;; [unrolled: 1-line block ×6, first 2 shown]
	v_add_f64 v[8:9], v[49:50], v[31:32]
	v_add_f64 v[10:11], v[71:72], v[41:42]
	v_add_f64 v[31:32], v[49:50], -v[31:32]
	v_add_f64 v[12:13], v[61:62], v[33:34]
	v_add_f64 v[14:15], v[73:74], v[51:52]
	;; [unrolled: 1-line block ×6, first 2 shown]
	v_add_f64 v[35:36], v[61:62], -v[33:34]
	v_add_f64 v[33:34], v[71:72], -v[41:42]
	v_add_f64 v[37:38], v[73:74], -v[51:52]
	v_add_f64 v[39:40], v[69:70], -v[53:54]
	v_add_f64 v[41:42], v[45:46], -v[59:60]
	v_add_f64 v[43:44], v[55:56], -v[57:58]
	v_add_f64 v[45:46], v[63:64], -v[65:66]
	ds_write_b128 v22, v[0:3]
	ds_write_b128 v22, v[4:7] offset:8000
	ds_write_b128 v22, v[8:11] offset:1600
	;; [unrolled: 1-line block ×9, first 2 shown]
	s_waitcnt lgkmcnt(0)
	s_barrier
	buffer_gl0_inv
	s_and_saveexec_b32 s0, vcc_lo
	s_cbranch_execz .LBB0_21
; %bb.20:
	v_mul_lo_u32 v2, s3, v18
	v_mul_lo_u32 v3, s2, v19
	v_mad_u64_u32 v[0:1], null, s2, v18, 0
	v_mov_b32_e32 v21, 0
	v_lshl_add_u32 v32, v20, 4, 0
	v_lshlrev_b64 v[12:13], 4, v[16:17]
	v_add_nc_u32_e32 v14, 0x64, v20
	v_add_nc_u32_e32 v16, 0xc8, v20
	v_mov_b32_e32 v15, v21
	v_add3_u32 v1, v1, v3, v2
	v_lshlrev_b64 v[18:19], 4, v[20:21]
	v_mov_b32_e32 v17, v21
	v_add_nc_u32_e32 v30, 0x190, v20
	v_mov_b32_e32 v31, v21
	v_lshlrev_b64 v[8:9], 4, v[0:1]
	ds_read_b128 v[0:3], v32
	ds_read_b128 v[4:7], v32 offset:1600
	v_add_co_u32 v22, vcc_lo, s10, v8
	v_add_co_ci_u32_e32 v23, vcc_lo, s11, v9, vcc_lo
	ds_read_b128 v[8:11], v32 offset:3200
	v_add_co_u32 v33, vcc_lo, v22, v12
	v_add_co_ci_u32_e32 v34, vcc_lo, v23, v13, vcc_lo
	v_lshlrev_b64 v[12:13], 4, v[14:15]
	v_add_co_u32 v22, vcc_lo, v33, v18
	v_lshlrev_b64 v[14:15], 4, v[16:17]
	v_add_nc_u32_e32 v16, 0x12c, v20
	v_add_co_ci_u32_e32 v23, vcc_lo, v34, v19, vcc_lo
	v_add_co_u32 v24, vcc_lo, v33, v12
	v_add_co_ci_u32_e32 v25, vcc_lo, v34, v13, vcc_lo
	v_lshlrev_b64 v[28:29], 4, v[16:17]
	ds_read_b128 v[16:19], v32 offset:6400
	v_add_co_u32 v26, vcc_lo, v33, v14
	v_add_co_ci_u32_e32 v27, vcc_lo, v34, v15, vcc_lo
	ds_read_b128 v[12:15], v32 offset:4800
	s_waitcnt lgkmcnt(4)
	global_store_dwordx4 v[22:23], v[0:3], off
	s_waitcnt lgkmcnt(3)
	global_store_dwordx4 v[24:25], v[4:7], off
	;; [unrolled: 2-line block ×3, first 2 shown]
	v_lshlrev_b64 v[0:1], 4, v[30:31]
	v_add_co_u32 v2, vcc_lo, v33, v28
	v_add_co_ci_u32_e32 v3, vcc_lo, v34, v29, vcc_lo
	v_add_nc_u32_e32 v4, 0x1f4, v20
	v_mov_b32_e32 v5, v21
	v_add_co_u32 v6, vcc_lo, v33, v0
	v_add_co_ci_u32_e32 v7, vcc_lo, v34, v1, vcc_lo
	v_add_nc_u32_e32 v8, 0x258, v20
	v_mov_b32_e32 v9, v21
	v_lshlrev_b64 v[4:5], 4, v[4:5]
	s_waitcnt lgkmcnt(1)
	global_store_dwordx4 v[6:7], v[16:19], off
	v_add_nc_u32_e32 v26, 0x320, v20
	v_mov_b32_e32 v27, v21
	v_lshlrev_b64 v[6:7], 4, v[8:9]
	s_waitcnt lgkmcnt(0)
	global_store_dwordx4 v[2:3], v[12:15], off
	v_add_co_u32 v22, vcc_lo, v33, v4
	v_add_nc_u32_e32 v12, 0x2bc, v20
	v_mov_b32_e32 v13, v21
	v_add_co_ci_u32_e32 v23, vcc_lo, v34, v5, vcc_lo
	v_add_co_u32 v24, vcc_lo, v33, v6
	ds_read_b128 v[0:3], v32 offset:8000
	v_add_co_ci_u32_e32 v25, vcc_lo, v34, v7, vcc_lo
	ds_read_b128 v[4:7], v32 offset:9600
	ds_read_b128 v[8:11], v32 offset:11200
	v_lshlrev_b64 v[28:29], 4, v[12:13]
	ds_read_b128 v[12:15], v32 offset:12800
	ds_read_b128 v[16:19], v32 offset:14400
	v_add_nc_u32_e32 v20, 0x384, v20
	v_lshlrev_b64 v[26:27], 4, v[26:27]
	v_add_co_u32 v28, vcc_lo, v33, v28
	v_lshlrev_b64 v[20:21], 4, v[20:21]
	v_add_co_ci_u32_e32 v29, vcc_lo, v34, v29, vcc_lo
	v_add_co_u32 v26, vcc_lo, v33, v26
	v_add_co_ci_u32_e32 v27, vcc_lo, v34, v27, vcc_lo
	v_add_co_u32 v20, vcc_lo, v33, v20
	v_add_co_ci_u32_e32 v21, vcc_lo, v34, v21, vcc_lo
	s_waitcnt lgkmcnt(4)
	global_store_dwordx4 v[22:23], v[0:3], off
	s_waitcnt lgkmcnt(3)
	global_store_dwordx4 v[24:25], v[4:7], off
	;; [unrolled: 2-line block ×5, first 2 shown]
.LBB0_21:
	s_endpgm
	.section	.rodata,"a",@progbits
	.p2align	6, 0x0
	.amdhsa_kernel fft_rtc_back_len1000_factors_10_10_10_wgs_100_tpt_100_halfLds_dp_op_CI_CI_unitstride_sbrr_C2R_dirReg
		.amdhsa_group_segment_fixed_size 0
		.amdhsa_private_segment_fixed_size 0
		.amdhsa_kernarg_size 104
		.amdhsa_user_sgpr_count 6
		.amdhsa_user_sgpr_private_segment_buffer 1
		.amdhsa_user_sgpr_dispatch_ptr 0
		.amdhsa_user_sgpr_queue_ptr 0
		.amdhsa_user_sgpr_kernarg_segment_ptr 1
		.amdhsa_user_sgpr_dispatch_id 0
		.amdhsa_user_sgpr_flat_scratch_init 0
		.amdhsa_user_sgpr_private_segment_size 0
		.amdhsa_wavefront_size32 1
		.amdhsa_uses_dynamic_stack 0
		.amdhsa_system_sgpr_private_segment_wavefront_offset 0
		.amdhsa_system_sgpr_workgroup_id_x 1
		.amdhsa_system_sgpr_workgroup_id_y 0
		.amdhsa_system_sgpr_workgroup_id_z 0
		.amdhsa_system_sgpr_workgroup_info 0
		.amdhsa_system_vgpr_workitem_id 0
		.amdhsa_next_free_vgpr 97
		.amdhsa_next_free_sgpr 27
		.amdhsa_reserve_vcc 1
		.amdhsa_reserve_flat_scratch 0
		.amdhsa_float_round_mode_32 0
		.amdhsa_float_round_mode_16_64 0
		.amdhsa_float_denorm_mode_32 3
		.amdhsa_float_denorm_mode_16_64 3
		.amdhsa_dx10_clamp 1
		.amdhsa_ieee_mode 1
		.amdhsa_fp16_overflow 0
		.amdhsa_workgroup_processor_mode 1
		.amdhsa_memory_ordered 1
		.amdhsa_forward_progress 0
		.amdhsa_shared_vgpr_count 0
		.amdhsa_exception_fp_ieee_invalid_op 0
		.amdhsa_exception_fp_denorm_src 0
		.amdhsa_exception_fp_ieee_div_zero 0
		.amdhsa_exception_fp_ieee_overflow 0
		.amdhsa_exception_fp_ieee_underflow 0
		.amdhsa_exception_fp_ieee_inexact 0
		.amdhsa_exception_int_div_zero 0
	.end_amdhsa_kernel
	.text
.Lfunc_end0:
	.size	fft_rtc_back_len1000_factors_10_10_10_wgs_100_tpt_100_halfLds_dp_op_CI_CI_unitstride_sbrr_C2R_dirReg, .Lfunc_end0-fft_rtc_back_len1000_factors_10_10_10_wgs_100_tpt_100_halfLds_dp_op_CI_CI_unitstride_sbrr_C2R_dirReg
                                        ; -- End function
	.section	.AMDGPU.csdata,"",@progbits
; Kernel info:
; codeLenInByte = 8524
; NumSgprs: 29
; NumVgprs: 97
; ScratchSize: 0
; MemoryBound: 0
; FloatMode: 240
; IeeeMode: 1
; LDSByteSize: 0 bytes/workgroup (compile time only)
; SGPRBlocks: 3
; VGPRBlocks: 12
; NumSGPRsForWavesPerEU: 29
; NumVGPRsForWavesPerEU: 97
; Occupancy: 9
; WaveLimiterHint : 1
; COMPUTE_PGM_RSRC2:SCRATCH_EN: 0
; COMPUTE_PGM_RSRC2:USER_SGPR: 6
; COMPUTE_PGM_RSRC2:TRAP_HANDLER: 0
; COMPUTE_PGM_RSRC2:TGID_X_EN: 1
; COMPUTE_PGM_RSRC2:TGID_Y_EN: 0
; COMPUTE_PGM_RSRC2:TGID_Z_EN: 0
; COMPUTE_PGM_RSRC2:TIDIG_COMP_CNT: 0
	.text
	.p2alignl 6, 3214868480
	.fill 48, 4, 3214868480
	.type	__hip_cuid_5bc5b333c5f32655,@object ; @__hip_cuid_5bc5b333c5f32655
	.section	.bss,"aw",@nobits
	.globl	__hip_cuid_5bc5b333c5f32655
__hip_cuid_5bc5b333c5f32655:
	.byte	0                               ; 0x0
	.size	__hip_cuid_5bc5b333c5f32655, 1

	.ident	"AMD clang version 19.0.0git (https://github.com/RadeonOpenCompute/llvm-project roc-6.4.0 25133 c7fe45cf4b819c5991fe208aaa96edf142730f1d)"
	.section	".note.GNU-stack","",@progbits
	.addrsig
	.addrsig_sym __hip_cuid_5bc5b333c5f32655
	.amdgpu_metadata
---
amdhsa.kernels:
  - .args:
      - .actual_access:  read_only
        .address_space:  global
        .offset:         0
        .size:           8
        .value_kind:     global_buffer
      - .offset:         8
        .size:           8
        .value_kind:     by_value
      - .actual_access:  read_only
        .address_space:  global
        .offset:         16
        .size:           8
        .value_kind:     global_buffer
      - .actual_access:  read_only
        .address_space:  global
        .offset:         24
        .size:           8
        .value_kind:     global_buffer
      - .actual_access:  read_only
        .address_space:  global
        .offset:         32
        .size:           8
        .value_kind:     global_buffer
      - .offset:         40
        .size:           8
        .value_kind:     by_value
      - .actual_access:  read_only
        .address_space:  global
        .offset:         48
        .size:           8
        .value_kind:     global_buffer
      - .actual_access:  read_only
        .address_space:  global
        .offset:         56
        .size:           8
        .value_kind:     global_buffer
      - .offset:         64
        .size:           4
        .value_kind:     by_value
      - .actual_access:  read_only
        .address_space:  global
        .offset:         72
        .size:           8
        .value_kind:     global_buffer
      - .actual_access:  read_only
        .address_space:  global
        .offset:         80
        .size:           8
        .value_kind:     global_buffer
      - .actual_access:  read_only
        .address_space:  global
        .offset:         88
        .size:           8
        .value_kind:     global_buffer
      - .actual_access:  write_only
        .address_space:  global
        .offset:         96
        .size:           8
        .value_kind:     global_buffer
    .group_segment_fixed_size: 0
    .kernarg_segment_align: 8
    .kernarg_segment_size: 104
    .language:       OpenCL C
    .language_version:
      - 2
      - 0
    .max_flat_workgroup_size: 100
    .name:           fft_rtc_back_len1000_factors_10_10_10_wgs_100_tpt_100_halfLds_dp_op_CI_CI_unitstride_sbrr_C2R_dirReg
    .private_segment_fixed_size: 0
    .sgpr_count:     29
    .sgpr_spill_count: 0
    .symbol:         fft_rtc_back_len1000_factors_10_10_10_wgs_100_tpt_100_halfLds_dp_op_CI_CI_unitstride_sbrr_C2R_dirReg.kd
    .uniform_work_group_size: 1
    .uses_dynamic_stack: false
    .vgpr_count:     97
    .vgpr_spill_count: 0
    .wavefront_size: 32
    .workgroup_processor_mode: 1
amdhsa.target:   amdgcn-amd-amdhsa--gfx1030
amdhsa.version:
  - 1
  - 2
...

	.end_amdgpu_metadata
